;; amdgpu-corpus repo=ROCm/rocFFT kind=compiled arch=gfx906 opt=O3
	.text
	.amdgcn_target "amdgcn-amd-amdhsa--gfx906"
	.amdhsa_code_object_version 6
	.protected	bluestein_single_back_len700_dim1_sp_op_CI_CI ; -- Begin function bluestein_single_back_len700_dim1_sp_op_CI_CI
	.globl	bluestein_single_back_len700_dim1_sp_op_CI_CI
	.p2align	8
	.type	bluestein_single_back_len700_dim1_sp_op_CI_CI,@function
bluestein_single_back_len700_dim1_sp_op_CI_CI: ; @bluestein_single_back_len700_dim1_sp_op_CI_CI
; %bb.0:
	s_load_dwordx4 s[0:3], s[4:5], 0x28
	v_mul_u32_u24_e32 v1, 0x290, v0
	v_add_u32_sdwa v55, s6, v1 dst_sel:DWORD dst_unused:UNUSED_PAD src0_sel:DWORD src1_sel:WORD_1
	v_mov_b32_e32 v56, 0
	s_waitcnt lgkmcnt(0)
	v_cmp_gt_u64_e32 vcc, s[0:1], v[55:56]
	s_and_saveexec_b64 s[0:1], vcc
	s_cbranch_execz .LBB0_23
; %bb.1:
	s_load_dwordx2 s[14:15], s[4:5], 0x0
	s_load_dwordx2 s[12:13], s[4:5], 0x38
	s_movk_i32 s0, 0x64
	v_mul_lo_u16_sdwa v1, v1, s0 dst_sel:DWORD dst_unused:UNUSED_PAD src0_sel:WORD_1 src1_sel:DWORD
	v_sub_u16_e32 v59, v0, v1
	s_movk_i32 s0, 0x46
	v_cmp_gt_u16_e64 s[0:1], s0, v59
	v_lshlrev_b32_e32 v58, 3, v59
	s_and_saveexec_b64 s[6:7], s[0:1]
	s_cbranch_execz .LBB0_3
; %bb.2:
	s_load_dwordx2 s[8:9], s[4:5], 0x18
	s_waitcnt lgkmcnt(0)
	v_mov_b32_e32 v34, s15
	s_load_dwordx4 s[8:11], s[8:9], 0x0
	s_waitcnt lgkmcnt(0)
	v_mad_u64_u32 v[0:1], s[16:17], s10, v55, 0
	v_mad_u64_u32 v[2:3], s[16:17], s8, v59, 0
	;; [unrolled: 1-line block ×4, first 2 shown]
	v_mov_b32_e32 v1, v4
	v_lshlrev_b64 v[0:1], 3, v[0:1]
	v_mov_b32_e32 v3, v5
	v_mov_b32_e32 v6, s3
	v_lshlrev_b64 v[2:3], 3, v[2:3]
	v_add_co_u32_e32 v0, vcc, s2, v0
	v_addc_co_u32_e32 v1, vcc, v6, v1, vcc
	v_add_co_u32_e32 v0, vcc, v0, v2
	s_mul_i32 s2, s9, 0x230
	s_mul_hi_u32 s3, s8, 0x230
	v_addc_co_u32_e32 v1, vcc, v1, v3, vcc
	s_mulk_i32 s8, 0x230
	s_add_i32 s2, s3, s2
	v_mov_b32_e32 v3, s2
	v_add_co_u32_e32 v2, vcc, s8, v0
	v_addc_co_u32_e32 v3, vcc, v1, v3, vcc
	v_mov_b32_e32 v5, s2
	v_add_co_u32_e32 v4, vcc, s8, v2
	v_addc_co_u32_e32 v5, vcc, v3, v5, vcc
	;; [unrolled: 3-line block ×3, first 2 shown]
	global_load_dwordx2 v[6:7], v58, s[14:15]
	global_load_dwordx2 v[8:9], v58, s[14:15] offset:560
	global_load_dwordx2 v[10:11], v58, s[14:15] offset:1120
	;; [unrolled: 1-line block ×7, first 2 shown]
	v_mov_b32_e32 v32, s2
	global_load_dwordx2 v[24:25], v[0:1], off
	global_load_dwordx2 v[26:27], v[2:3], off
	global_load_dwordx2 v[28:29], v[4:5], off
	global_load_dwordx2 v[30:31], v[22:23], off
	v_add_co_u32_e32 v0, vcc, s8, v22
	v_addc_co_u32_e32 v1, vcc, v23, v32, vcc
	v_mov_b32_e32 v33, s2
	v_add_co_u32_e32 v2, vcc, s8, v0
	v_addc_co_u32_e32 v3, vcc, v1, v33, vcc
	v_mov_b32_e32 v35, s2
	;; [unrolled: 3-line block ×4, first 2 shown]
	v_add_co_u32_e32 v32, vcc, s8, v22
	global_load_dwordx2 v[0:1], v[0:1], off
	v_addc_co_u32_e32 v33, vcc, v23, v37, vcc
	v_add_co_u32_e32 v40, vcc, s14, v58
	s_movk_i32 s3, 0x1000
	global_load_dwordx2 v[2:3], v[2:3], off
	v_addc_co_u32_e32 v41, vcc, 0, v34, vcc
	global_load_dwordx2 v[34:35], v[4:5], off
	global_load_dwordx2 v[36:37], v[22:23], off
	;; [unrolled: 1-line block ×3, first 2 shown]
	v_add_co_u32_e32 v4, vcc, s3, v40
	v_addc_co_u32_e32 v5, vcc, 0, v41, vcc
	v_mov_b32_e32 v40, s2
	v_add_co_u32_e32 v32, vcc, s8, v32
	global_load_dwordx2 v[22:23], v[4:5], off offset:384
	v_addc_co_u32_e32 v33, vcc, v33, v40, vcc
	global_load_dwordx2 v[40:41], v[4:5], off offset:944
	global_load_dwordx2 v[42:43], v[32:33], off
	s_waitcnt vmcnt(11)
	v_mul_f32_e32 v4, v24, v7
	v_fma_f32 v5, v25, v6, -v4
	v_mul_f32_e32 v4, v25, v7
	v_fmac_f32_e32 v4, v24, v6
	s_waitcnt vmcnt(10)
	v_mul_f32_e32 v6, v26, v9
	v_fma_f32 v7, v27, v8, -v6
	v_mul_f32_e32 v6, v27, v9
	v_fmac_f32_e32 v6, v26, v8
	ds_write2_b64 v58, v[4:5], v[6:7] offset1:70
	s_waitcnt vmcnt(9)
	v_mul_f32_e32 v4, v28, v11
	s_waitcnt vmcnt(8)
	v_mul_f32_e32 v6, v30, v13
	v_fma_f32 v5, v29, v10, -v4
	v_mul_f32_e32 v4, v29, v11
	v_fma_f32 v7, v31, v12, -v6
	v_mul_f32_e32 v6, v31, v13
	v_fmac_f32_e32 v4, v28, v10
	v_fmac_f32_e32 v6, v30, v12
	ds_write2_b64 v58, v[4:5], v[6:7] offset0:140 offset1:210
	v_add_u32_e32 v6, 0x800, v58
	s_waitcnt vmcnt(7)
	v_mul_f32_e32 v4, v1, v15
	v_fmac_f32_e32 v4, v0, v14
	v_mul_f32_e32 v0, v0, v15
	v_fma_f32 v5, v1, v14, -v0
	s_waitcnt vmcnt(6)
	v_mul_f32_e32 v0, v3, v17
	v_mul_f32_e32 v1, v2, v17
	v_fmac_f32_e32 v0, v2, v16
	v_fma_f32 v1, v3, v16, -v1
	ds_write2_b64 v6, v[4:5], v[0:1] offset0:24 offset1:94
	s_waitcnt vmcnt(5)
	v_mul_f32_e32 v0, v35, v19
	v_mul_f32_e32 v1, v34, v19
	s_waitcnt vmcnt(4)
	v_mul_f32_e32 v2, v37, v21
	v_mul_f32_e32 v3, v36, v21
	v_fmac_f32_e32 v0, v34, v18
	v_fma_f32 v1, v35, v18, -v1
	v_fmac_f32_e32 v2, v36, v20
	v_fma_f32 v3, v37, v20, -v3
	ds_write2_b64 v6, v[0:1], v[2:3] offset0:164 offset1:234
	s_waitcnt vmcnt(2)
	v_mul_f32_e32 v0, v39, v23
	v_mul_f32_e32 v1, v38, v23
	s_waitcnt vmcnt(0)
	v_mul_f32_e32 v2, v43, v41
	v_mul_f32_e32 v3, v42, v41
	v_fmac_f32_e32 v0, v38, v22
	v_fma_f32 v1, v39, v22, -v1
	v_fmac_f32_e32 v2, v42, v40
	v_fma_f32 v3, v43, v40, -v3
	v_add_u32_e32 v4, 0x1000, v58
	ds_write2_b64 v4, v[0:1], v[2:3] offset0:48 offset1:118
.LBB0_3:
	s_or_b64 exec, exec, s[6:7]
	s_load_dwordx2 s[6:7], s[4:5], 0x20
	s_load_dwordx2 s[2:3], s[4:5], 0x8
	s_waitcnt lgkmcnt(0)
	s_barrier
	s_waitcnt lgkmcnt(0)
                                        ; implicit-def: $vgpr2
                                        ; implicit-def: $vgpr10
                                        ; implicit-def: $vgpr12
                                        ; implicit-def: $vgpr16
                                        ; implicit-def: $vgpr6
	s_and_saveexec_b64 s[4:5], s[0:1]
	s_cbranch_execz .LBB0_5
; %bb.4:
	v_add_u32_e32 v12, 0x800, v58
	v_add_u32_e32 v16, 0x1000, v58
	ds_read2_b64 v[4:7], v58 offset1:70
	ds_read2_b64 v[0:3], v58 offset0:140 offset1:210
	ds_read2_b64 v[8:11], v12 offset0:24 offset1:94
	;; [unrolled: 1-line block ×4, first 2 shown]
.LBB0_5:
	s_or_b64 exec, exec, s[4:5]
	s_waitcnt lgkmcnt(2)
	v_sub_f32_e32 v20, v0, v8
	s_waitcnt lgkmcnt(0)
	v_sub_f32_e32 v21, v16, v12
	v_add_f32_e32 v26, v21, v20
	v_add_f32_e32 v20, v16, v0
	v_fma_f32 v21, -0.5, v20, v4
	v_sub_f32_e32 v25, v9, v13
	v_mov_b32_e32 v20, v21
	v_sub_f32_e32 v24, v1, v17
	v_fmac_f32_e32 v20, 0xbf737871, v25
	v_sub_f32_e32 v22, v8, v0
	v_sub_f32_e32 v23, v12, v16
	v_fmac_f32_e32 v21, 0x3f737871, v25
	v_fmac_f32_e32 v20, 0x3f167918, v24
	v_add_f32_e32 v22, v23, v22
	v_fmac_f32_e32 v21, 0xbf167918, v24
	v_fmac_f32_e32 v20, 0x3e9e377a, v22
	;; [unrolled: 1-line block ×3, first 2 shown]
	v_sub_f32_e32 v22, v1, v9
	v_sub_f32_e32 v23, v17, v13
	v_add_f32_e32 v29, v23, v22
	v_add_f32_e32 v22, v17, v1
	v_fma_f32 v23, -0.5, v22, v5
	v_sub_f32_e32 v28, v8, v12
	v_mov_b32_e32 v22, v23
	v_sub_f32_e32 v27, v0, v16
	v_fmac_f32_e32 v22, 0x3f737871, v28
	v_sub_f32_e32 v30, v9, v1
	v_sub_f32_e32 v31, v13, v17
	v_fmac_f32_e32 v23, 0xbf737871, v28
	v_fmac_f32_e32 v22, 0xbf167918, v27
	v_add_f32_e32 v30, v31, v30
	v_fmac_f32_e32 v23, 0x3f167918, v27
	v_fmac_f32_e32 v22, 0x3e9e377a, v30
	;; [unrolled: 1-line block ×3, first 2 shown]
	v_sub_f32_e32 v30, v2, v10
	v_sub_f32_e32 v31, v18, v14
	v_add_f32_e32 v37, v30, v31
	v_add_f32_e32 v30, v2, v18
	v_fma_f32 v30, -0.5, v30, v6
	v_sub_f32_e32 v31, v10, v2
	v_sub_f32_e32 v32, v14, v18
	;; [unrolled: 1-line block ×3, first 2 shown]
	v_add_f32_e32 v31, v31, v32
	v_mov_b32_e32 v32, v30
	v_fmac_f32_e32 v32, 0xbf737871, v36
	v_sub_f32_e32 v39, v3, v19
	v_fmac_f32_e32 v30, 0x3f737871, v36
	v_fmac_f32_e32 v32, 0x3f167918, v39
	;; [unrolled: 1-line block ×5, first 2 shown]
	v_sub_f32_e32 v31, v3, v11
	v_sub_f32_e32 v33, v19, v15
	v_add_f32_e32 v41, v31, v33
	v_sub_f32_e32 v31, v11, v3
	v_sub_f32_e32 v33, v15, v19
	v_add_f32_e32 v31, v31, v33
	v_add_f32_e32 v33, v3, v19
	v_fma_f32 v33, -0.5, v33, v7
	v_sub_f32_e32 v44, v10, v14
	v_mov_b32_e32 v34, v33
	v_fmac_f32_e32 v34, 0x3f737871, v44
	v_sub_f32_e32 v46, v2, v18
	v_fmac_f32_e32 v33, 0xbf737871, v44
	v_fmac_f32_e32 v34, 0xbf167918, v46
	;; [unrolled: 1-line block ×5, first 2 shown]
	s_mov_b32 s4, 0x3f737871
	v_mul_f32_e32 v31, 0x3e9e377a, v30
	s_mov_b32 s5, 0xbf737871
	v_fma_f32 v42, v33, s4, -v31
	v_mul_f32_e32 v31, 0x3e9e377a, v33
	v_fma_f32 v43, v30, s5, -v31
	v_add_f32_e32 v30, v10, v14
	v_fma_f32 v50, -0.5, v30, v6
	v_add_f32_e32 v31, v11, v15
	v_mov_b32_e32 v30, v50
	v_fma_f32 v52, -0.5, v31, v7
	v_fmac_f32_e32 v30, 0xbf737871, v39
	v_mov_b32_e32 v31, v52
	v_fmac_f32_e32 v30, 0xbf167918, v36
	v_fmac_f32_e32 v31, 0x3f737871, v46
	v_mul_f32_e32 v38, 0x3f737871, v34
	v_fmac_f32_e32 v30, 0x3e9e377a, v37
	v_fmac_f32_e32 v31, 0x3f167918, v44
	v_fmac_f32_e32 v38, 0x3e9e377a, v32
	v_mul_f32_e32 v40, 0xbf737871, v32
	s_mov_b32 s4, 0x3f167918
	v_fmac_f32_e32 v31, 0x3e9e377a, v41
	v_mul_f32_e32 v32, 0x3f4f1bbd, v30
	s_mov_b32 s5, 0xbf167918
	v_fma_f32 v45, v31, s4, -v32
	v_mul_f32_e32 v31, 0x3f4f1bbd, v31
	v_fma_f32 v48, v30, s5, -v31
	v_add_f32_e32 v30, v12, v8
	v_fma_f32 v51, -0.5, v30, v4
	v_add_f32_e32 v30, v13, v9
	v_fma_f32 v53, -0.5, v30, v5
	v_mov_b32_e32 v47, v51
	v_mov_b32_e32 v49, v53
	v_fmac_f32_e32 v47, 0xbf737871, v24
	v_fmac_f32_e32 v49, 0x3f737871, v27
	;; [unrolled: 1-line block ×7, first 2 shown]
	s_mov_b32 s8, 0x3f4f1bbd
	v_sub_f32_e32 v32, v21, v42
	v_sub_f32_e32 v34, v47, v45
	;; [unrolled: 1-line block ×6, first 2 shown]
	v_mul_lo_u16_e32 v60, 10, v59
	s_barrier
	s_and_saveexec_b64 s[4:5], s[0:1]
	s_cbranch_execz .LBB0_7
; %bb.6:
	v_add_f32_e32 v1, v1, v5
	v_mul_f32_e32 v27, 0x3f737871, v27
	v_add_f32_e32 v1, v9, v1
	v_mul_f32_e32 v28, 0x3f167918, v28
	v_sub_f32_e32 v27, v53, v27
	v_add_f32_e32 v1, v13, v1
	v_add_f32_e32 v0, v0, v4
	v_mul_f32_e32 v29, 0x3e9e377a, v29
	v_mul_f32_e32 v39, 0x3f737871, v39
	;; [unrolled: 1-line block ×3, first 2 shown]
	v_sub_f32_e32 v27, v27, v28
	v_add_f32_e32 v9, v17, v1
	v_add_f32_e32 v1, v3, v7
	;; [unrolled: 1-line block ×3, first 2 shown]
	v_mul_f32_e32 v36, 0x3f167918, v36
	v_mul_f32_e32 v44, 0x3f167918, v44
	v_add_f32_e32 v27, v29, v27
	v_sub_f32_e32 v28, v52, v46
	v_add_f32_e32 v29, v39, v50
	v_add_f32_e32 v1, v11, v1
	;; [unrolled: 1-line block ×3, first 2 shown]
	v_mul_f32_e32 v24, 0x3f737871, v24
	v_mul_f32_e32 v37, 0x3e9e377a, v37
	;; [unrolled: 1-line block ×3, first 2 shown]
	v_sub_f32_e32 v28, v28, v44
	v_add_f32_e32 v29, v36, v29
	v_add_f32_e32 v1, v15, v1
	v_add_f32_e32 v8, v16, v0
	v_add_f32_e32 v0, v2, v6
	v_mul_f32_e32 v25, 0x3f167918, v25
	v_add_f32_e32 v28, v41, v28
	v_add_f32_e32 v36, v37, v29
	;; [unrolled: 1-line block ×5, first 2 shown]
	v_mul_f32_e32 v26, 0x3e9e377a, v26
	v_mul_f32_e32 v29, 0x3f167918, v36
	v_add_f32_e32 v1, v25, v1
	v_mul_f32_e32 v17, 0x3f167918, v28
	v_add_f32_e32 v0, v14, v0
	v_fma_f32 v37, v28, s8, -v29
	v_add_f32_e32 v15, v26, v1
	v_fmac_f32_e32 v17, 0x3f4f1bbd, v36
	v_add_f32_e32 v12, v18, v0
	v_sub_f32_e32 v3, v9, v13
	v_sub_f32_e32 v2, v8, v12
	v_add_f32_e32 v11, v27, v37
	v_add_f32_e32 v9, v13, v9
	;; [unrolled: 1-line block ×4, first 2 shown]
	v_lshlrev_b32_e32 v12, 3, v60
	v_sub_f32_e32 v29, v27, v37
	v_sub_f32_e32 v28, v15, v17
	v_add_f32_e32 v1, v49, v48
	v_add_f32_e32 v7, v23, v43
	;; [unrolled: 1-line block ×6, first 2 shown]
	ds_write_b128 v12, v[8:11]
	ds_write_b128 v12, v[4:7] offset:16
	ds_write_b128 v12, v[0:3] offset:32
	;; [unrolled: 1-line block ×4, first 2 shown]
.LBB0_7:
	s_or_b64 exec, exec, s[4:5]
	s_movk_i32 s8, 0xcd
	v_mul_lo_u16_sdwa v0, v59, s8 dst_sel:DWORD dst_unused:UNUSED_PAD src0_sel:BYTE_0 src1_sel:DWORD
	v_lshrrev_b16_e32 v27, 11, v0
	v_mul_lo_u16_e32 v0, 10, v27
	v_sub_u16_e32 v0, v59, v0
	v_and_b32_e32 v48, 0xff, v0
	v_mul_u32_u24_e32 v0, 6, v48
	v_lshlrev_b32_e32 v12, 3, v0
	s_load_dwordx4 s[4:7], s[6:7], 0x0
	s_waitcnt lgkmcnt(0)
	s_barrier
	global_load_dwordx4 v[8:11], v12, s[2:3]
	global_load_dwordx4 v[4:7], v12, s[2:3] offset:16
	global_load_dwordx4 v[0:3], v12, s[2:3] offset:32
	v_add_u32_e32 v17, 0x400, v58
	v_add_u32_e32 v12, 0x800, v58
	ds_read2_b64 v[13:16], v58 offset1:100
	ds_read_b64 v[25:26], v58 offset:4800
	ds_read2_b64 v[17:20], v17 offset0:72 offset1:172
	ds_read2_b64 v[21:24], v12 offset0:144 offset1:244
	s_mov_b32 s9, 0x3f3bfb3b
	s_mov_b32 s8, 0x3f5ff5aa
	;; [unrolled: 1-line block ×3, first 2 shown]
	s_waitcnt vmcnt(0) lgkmcnt(0)
	s_barrier
	v_mul_f32_e32 v28, v16, v9
	v_mul_f32_e32 v29, v15, v9
	;; [unrolled: 1-line block ×11, first 2 shown]
	v_fma_f32 v15, v15, v8, -v28
	v_fmac_f32_e32 v29, v16, v8
	v_fma_f32 v16, v17, v10, -v36
	v_fma_f32 v17, v19, v4, -v38
	v_fmac_f32_e32 v39, v20, v4
	v_fma_f32 v19, v23, v0, -v42
	v_fma_f32 v20, v25, v2, -v44
	v_mul_f32_e32 v41, v21, v7
	v_fmac_f32_e32 v37, v18, v10
	v_fma_f32 v18, v21, v6, -v40
	v_fmac_f32_e32 v43, v24, v0
	v_fmac_f32_e32 v45, v26, v2
	v_add_f32_e32 v21, v15, v20
	v_add_f32_e32 v23, v16, v19
	v_fmac_f32_e32 v41, v22, v6
	v_add_f32_e32 v22, v29, v45
	v_add_f32_e32 v24, v37, v43
	;; [unrolled: 1-line block ×4, first 2 shown]
	v_sub_f32_e32 v15, v15, v20
	v_sub_f32_e32 v20, v29, v45
	;; [unrolled: 1-line block ×4, first 2 shown]
	v_add_f32_e32 v26, v39, v41
	v_sub_f32_e32 v17, v18, v17
	v_sub_f32_e32 v18, v41, v39
	v_add_f32_e32 v29, v24, v22
	v_sub_f32_e32 v36, v23, v21
	v_sub_f32_e32 v21, v21, v25
	;; [unrolled: 1-line block ×3, first 2 shown]
	v_add_f32_e32 v25, v25, v28
	v_sub_f32_e32 v37, v24, v22
	v_sub_f32_e32 v22, v22, v26
	;; [unrolled: 1-line block ×5, first 2 shown]
	v_add_f32_e32 v26, v26, v29
	v_mul_f32_e32 v28, 0x3d64c772, v23
	v_add_f32_e32 v44, v13, v25
	v_add_f32_e32 v38, v17, v16
	;; [unrolled: 1-line block ×3, first 2 shown]
	v_sub_f32_e32 v16, v16, v15
	v_sub_f32_e32 v19, v19, v20
	v_mul_f32_e32 v29, 0x3d64c772, v24
	v_mul_f32_e32 v49, 0xbf08b237, v40
	;; [unrolled: 1-line block ×3, first 2 shown]
	v_add_f32_e32 v45, v14, v26
	v_fma_f32 v13, v36, s9, -v28
	v_mov_b32_e32 v28, v44
	v_sub_f32_e32 v17, v15, v17
	v_sub_f32_e32 v18, v20, v18
	v_add_f32_e32 v15, v38, v15
	v_add_f32_e32 v20, v39, v20
	v_mul_f32_e32 v21, 0x3f4a47b2, v21
	v_mul_f32_e32 v22, 0x3f4a47b2, v22
	;; [unrolled: 1-line block ×4, first 2 shown]
	v_fma_f32 v14, v37, s9, -v29
	v_mov_b32_e32 v29, v45
	v_fmac_f32_e32 v28, 0xbf955555, v25
	v_fma_f32 v16, v16, s8, -v49
	v_fma_f32 v19, v19, s8, -v50
	s_mov_b32 s8, 0xbeae86e6
	v_fmac_f32_e32 v29, 0xbf955555, v26
	v_fma_f32 v25, v36, s10, -v21
	v_fmac_f32_e32 v21, 0x3d64c772, v23
	v_fma_f32 v23, v37, s10, -v22
	v_fmac_f32_e32 v22, 0x3d64c772, v24
	v_fmac_f32_e32 v49, 0x3eae86e6, v17
	v_fmac_f32_e32 v50, 0x3eae86e6, v18
	v_fma_f32 v17, v17, s8, -v38
	v_fma_f32 v18, v18, s8, -v39
	v_add_f32_e32 v13, v13, v28
	v_fmac_f32_e32 v19, 0x3ee1c552, v20
	v_add_f32_e32 v21, v21, v28
	v_add_f32_e32 v22, v22, v29
	;; [unrolled: 1-line block ×5, first 2 shown]
	v_fmac_f32_e32 v49, 0x3ee1c552, v15
	v_fmac_f32_e32 v50, 0x3ee1c552, v20
	;; [unrolled: 1-line block ×5, first 2 shown]
	v_sub_f32_e32 v38, v13, v19
	v_add_f32_e32 v40, v19, v13
	v_mul_u32_u24_e32 v13, 0x46, v27
	v_add_f32_e32 v46, v50, v21
	v_sub_f32_e32 v47, v22, v49
	v_add_f32_e32 v36, v18, v24
	v_sub_f32_e32 v37, v23, v17
	;; [unrolled: 2-line block ×3, first 2 shown]
	v_sub_f32_e32 v42, v24, v18
	v_add_f32_e32 v43, v17, v23
	v_sub_f32_e32 v28, v21, v50
	v_add_f32_e32 v29, v49, v22
	v_add_lshl_u32 v61, v13, v48, 3
	ds_write2_b64 v61, v[44:45], v[46:47] offset1:10
	ds_write2_b64 v61, v[36:37], v[38:39] offset0:20 offset1:30
	ds_write2_b64 v61, v[40:41], v[42:43] offset0:40 offset1:50
	ds_write_b64 v61, v[28:29] offset:480
	s_waitcnt lgkmcnt(0)
	s_barrier
	s_and_saveexec_b64 s[8:9], s[0:1]
	s_cbranch_execz .LBB0_9
; %bb.8:
	ds_read2_b64 v[44:47], v58 offset1:70
	ds_read2_b64 v[36:39], v58 offset0:140 offset1:210
	ds_read2_b64 v[40:43], v12 offset0:24 offset1:94
	;; [unrolled: 1-line block ×3, first 2 shown]
	v_add_u32_e32 v12, 0x1000, v58
	ds_read2_b64 v[32:35], v12 offset0:48 offset1:118
.LBB0_9:
	s_or_b64 exec, exec, s[8:9]
	v_add_u32_e32 v12, 0xffffffba, v59
	v_cndmask_b32_e64 v12, v12, v59, s[0:1]
	v_mul_hi_i32_i24_e32 v13, 0x48, v12
	v_mul_i32_i24_e32 v12, 0x48, v12
	v_mov_b32_e32 v14, s3
	v_add_co_u32_e32 v48, vcc, s2, v12
	v_addc_co_u32_e32 v49, vcc, v14, v13, vcc
	global_load_dwordx4 v[12:15], v[48:49], off offset:480
	global_load_dwordx4 v[24:27], v[48:49], off offset:496
	;; [unrolled: 1-line block ×4, first 2 shown]
	global_load_dwordx2 v[56:57], v[48:49], off offset:544
	s_mov_b32 s8, 0x3f737871
	s_mov_b32 s9, 0x3f167918
	;; [unrolled: 1-line block ×4, first 2 shown]
	s_waitcnt vmcnt(4) lgkmcnt(3)
	v_mul_f32_e32 v50, v37, v15
	v_mul_f32_e32 v51, v36, v15
	s_waitcnt vmcnt(3)
	v_mul_f32_e32 v52, v39, v25
	s_waitcnt lgkmcnt(2)
	v_mul_f32_e32 v54, v41, v27
	v_mul_f32_e32 v62, v40, v27
	s_waitcnt vmcnt(2) lgkmcnt(1)
	v_mul_f32_e32 v65, v29, v23
	v_mul_f32_e32 v66, v28, v23
	s_waitcnt vmcnt(1)
	v_mul_f32_e32 v67, v31, v17
	s_waitcnt lgkmcnt(0)
	v_mul_f32_e32 v69, v33, v19
	v_mul_f32_e32 v49, v46, v13
	;; [unrolled: 1-line block ×6, first 2 shown]
	v_fma_f32 v36, v36, v14, -v50
	v_fmac_f32_e32 v51, v37, v14
	v_fma_f32 v37, v38, v24, -v52
	v_fma_f32 v38, v40, v26, -v54
	v_fmac_f32_e32 v62, v41, v26
	v_fma_f32 v28, v28, v22, -v65
	v_fmac_f32_e32 v66, v29, v22
	v_fma_f32 v29, v30, v16, -v67
	v_fma_f32 v30, v32, v18, -v69
	v_mul_f32_e32 v48, v47, v13
	v_mul_f32_e32 v63, v43, v21
	v_fmac_f32_e32 v49, v47, v12
	v_fmac_f32_e32 v64, v43, v20
	;; [unrolled: 1-line block ×3, first 2 shown]
	v_add_f32_e32 v32, v44, v36
	v_add_f32_e32 v33, v38, v28
	v_sub_f32_e32 v40, v36, v38
	v_sub_f32_e32 v41, v30, v28
	;; [unrolled: 1-line block ×4, first 2 shown]
	v_add_f32_e32 v50, v62, v66
	v_fma_f32 v46, v46, v12, -v48
	v_add_f32_e32 v48, v45, v51
	v_add_f32_e32 v32, v32, v38
	v_fma_f32 v52, -0.5, v33, v44
	v_add_f32_e32 v33, v40, v41
	v_add_f32_e32 v40, v43, v47
	v_fma_f32 v47, -0.5, v50, v45
	v_fmac_f32_e32 v53, v39, v24
	v_fma_f32 v39, v42, v20, -v63
	v_add_f32_e32 v42, v36, v30
	v_sub_f32_e32 v36, v36, v30
	v_add_f32_e32 v41, v48, v62
	v_add_f32_e32 v32, v32, v28
	v_mov_b32_e32 v48, v47
	v_add_f32_e32 v50, v32, v30
	v_fmac_f32_e32 v48, 0xbf737871, v36
	v_sub_f32_e32 v28, v38, v28
	v_sub_f32_e32 v30, v51, v62
	;; [unrolled: 1-line block ×3, first 2 shown]
	v_fmac_f32_e32 v47, 0x3f737871, v36
	v_fmac_f32_e32 v48, 0xbf167918, v28
	v_add_f32_e32 v30, v30, v32
	v_fmac_f32_e32 v47, 0x3f167918, v28
	v_fmac_f32_e32 v48, 0x3e9e377a, v30
	;; [unrolled: 1-line block ×3, first 2 shown]
	v_add_f32_e32 v30, v51, v70
	v_fmac_f32_e32 v45, -0.5, v30
	v_mov_b32_e32 v54, v45
	s_waitcnt vmcnt(0)
	v_mul_f32_e32 v72, v34, v57
	v_fmac_f32_e32 v44, -0.5, v42
	v_fmac_f32_e32 v54, 0x3f737871, v28
	v_fmac_f32_e32 v45, 0xbf737871, v28
	v_add_f32_e32 v28, v46, v37
	v_mul_f32_e32 v71, v35, v57
	v_fmac_f32_e32 v72, v35, v56
	v_sub_f32_e32 v35, v62, v66
	v_mov_b32_e32 v43, v44
	v_add_f32_e32 v28, v28, v39
	v_fmac_f32_e32 v68, v31, v16
	v_fma_f32 v31, v34, v56, -v71
	v_sub_f32_e32 v34, v51, v70
	v_mov_b32_e32 v42, v52
	v_fmac_f32_e32 v44, 0x3f737871, v35
	v_fmac_f32_e32 v43, 0xbf737871, v35
	v_add_f32_e32 v28, v28, v29
	v_fmac_f32_e32 v52, 0xbf737871, v34
	v_fmac_f32_e32 v42, 0x3f737871, v34
	v_fmac_f32_e32 v44, 0xbf167918, v34
	v_fmac_f32_e32 v43, 0x3f167918, v34
	v_add_f32_e32 v38, v28, v31
	v_add_f32_e32 v28, v39, v29
	v_fmac_f32_e32 v52, 0xbf167918, v35
	v_fmac_f32_e32 v42, 0x3f167918, v35
	v_fmac_f32_e32 v44, 0x3e9e377a, v40
	v_fmac_f32_e32 v43, 0x3e9e377a, v40
	v_sub_f32_e32 v30, v62, v51
	v_sub_f32_e32 v32, v66, v70
	v_fma_f32 v40, -0.5, v28, v46
	v_fmac_f32_e32 v52, 0x3e9e377a, v33
	v_fmac_f32_e32 v42, 0x3e9e377a, v33
	;; [unrolled: 1-line block ×3, first 2 shown]
	v_add_f32_e32 v30, v30, v32
	v_fmac_f32_e32 v45, 0x3f167918, v36
	v_sub_f32_e32 v28, v53, v72
	v_mov_b32_e32 v33, v40
	v_fmac_f32_e32 v54, 0x3e9e377a, v30
	v_fmac_f32_e32 v45, 0x3e9e377a, v30
	;; [unrolled: 1-line block ×3, first 2 shown]
	v_sub_f32_e32 v30, v64, v68
	v_sub_f32_e32 v32, v37, v39
	;; [unrolled: 1-line block ×3, first 2 shown]
	v_fmac_f32_e32 v40, 0xbf737871, v28
	v_fmac_f32_e32 v33, 0x3f167918, v30
	v_add_f32_e32 v32, v32, v34
	v_fmac_f32_e32 v40, 0xbf167918, v30
	v_fmac_f32_e32 v33, 0x3e9e377a, v32
	;; [unrolled: 1-line block ×3, first 2 shown]
	v_add_f32_e32 v32, v37, v31
	v_fmac_f32_e32 v46, -0.5, v32
	v_mov_b32_e32 v35, v46
	v_fmac_f32_e32 v35, 0xbf737871, v30
	v_fmac_f32_e32 v46, 0x3f737871, v30
	v_fmac_f32_e32 v35, 0x3f167918, v28
	v_fmac_f32_e32 v46, 0xbf167918, v28
	v_add_f32_e32 v28, v49, v53
	v_add_f32_e32 v28, v28, v64
	;; [unrolled: 1-line block ×5, first 2 shown]
	v_sub_f32_e32 v32, v39, v37
	v_sub_f32_e32 v34, v29, v31
	v_fma_f32 v62, -0.5, v28, v49
	v_add_f32_e32 v32, v32, v34
	v_sub_f32_e32 v28, v37, v31
	v_mov_b32_e32 v31, v62
	v_fmac_f32_e32 v35, 0x3e9e377a, v32
	v_fmac_f32_e32 v46, 0x3e9e377a, v32
	;; [unrolled: 1-line block ×3, first 2 shown]
	v_sub_f32_e32 v29, v39, v29
	v_sub_f32_e32 v30, v53, v64
	;; [unrolled: 1-line block ×3, first 2 shown]
	v_fmac_f32_e32 v62, 0x3f737871, v28
	v_fmac_f32_e32 v31, 0xbf167918, v29
	v_add_f32_e32 v30, v30, v32
	v_fmac_f32_e32 v62, 0x3f167918, v29
	v_fmac_f32_e32 v31, 0x3e9e377a, v30
	;; [unrolled: 1-line block ×3, first 2 shown]
	v_add_f32_e32 v30, v53, v72
	v_fmac_f32_e32 v49, -0.5, v30
	v_mov_b32_e32 v37, v49
	v_fmac_f32_e32 v37, 0x3f737871, v29
	v_sub_f32_e32 v30, v64, v53
	v_sub_f32_e32 v32, v68, v72
	v_fmac_f32_e32 v37, 0xbf167918, v28
	v_add_f32_e32 v30, v30, v32
	v_fmac_f32_e32 v49, 0xbf737871, v29
	v_fmac_f32_e32 v37, 0x3e9e377a, v30
	;; [unrolled: 1-line block ×3, first 2 shown]
	v_add_f32_e32 v41, v41, v66
	v_fmac_f32_e32 v49, 0x3e9e377a, v30
	v_mul_f32_e32 v53, 0x3f737871, v37
	v_mul_f32_e32 v29, 0x3e9e377a, v46
	;; [unrolled: 1-line block ×4, first 2 shown]
	v_fmac_f32_e32 v53, 0x3e9e377a, v35
	v_fma_f32 v63, v49, s8, -v29
	v_mul_f32_e32 v29, 0x3f4f1bbd, v40
	v_mul_f32_e32 v65, 0xbf167918, v33
	v_fmac_f32_e32 v66, 0x3e9e377a, v37
	v_mul_f32_e32 v35, 0x3e9e377a, v49
	v_mul_f32_e32 v37, 0x3f4f1bbd, v62
	v_add_f32_e32 v41, v41, v70
	v_fmac_f32_e32 v39, 0x3f4f1bbd, v33
	v_fma_f32 v64, v62, s9, -v29
	v_fmac_f32_e32 v65, 0x3f4f1bbd, v31
	v_fma_f32 v49, v46, s2, -v35
	v_fma_f32 v62, v40, s3, -v37
	v_add_f32_e32 v28, v50, v38
	v_add_f32_e32 v30, v42, v39
	v_add_f32_e32 v32, v43, v53
	v_add_f32_e32 v34, v44, v63
	v_add_f32_e32 v36, v52, v64
	v_add_f32_e32 v29, v41, v51
	v_add_f32_e32 v31, v48, v65
	v_add_f32_e32 v33, v54, v66
	v_add_f32_e32 v35, v45, v49
	v_add_f32_e32 v37, v47, v62
	v_sub_f32_e32 v38, v50, v38
	v_sub_f32_e32 v40, v42, v39
	;; [unrolled: 1-line block ×10, first 2 shown]
	s_and_saveexec_b64 s[2:3], s[0:1]
	s_cbranch_execz .LBB0_11
; %bb.10:
	v_add_u32_e32 v48, 0x800, v58
	ds_write2_b64 v58, v[28:29], v[30:31] offset1:70
	ds_write2_b64 v58, v[32:33], v[34:35] offset0:140 offset1:210
	ds_write2_b64 v48, v[36:37], v[38:39] offset0:24 offset1:94
	;; [unrolled: 1-line block ×3, first 2 shown]
	v_add_u32_e32 v48, 0x1000, v58
	ds_write2_b64 v48, v[44:45], v[46:47] offset0:48 offset1:118
.LBB0_11:
	s_or_b64 exec, exec, s[2:3]
	s_waitcnt lgkmcnt(0)
	s_barrier
	s_and_saveexec_b64 s[2:3], s[0:1]
	s_cbranch_execz .LBB0_13
; %bb.12:
	v_add_co_u32_e32 v54, vcc, s14, v58
	v_mov_b32_e32 v48, s15
	v_addc_co_u32_e32 v66, vcc, 0, v48, vcc
	v_add_co_u32_e32 v52, vcc, 0x15e0, v54
	v_addc_co_u32_e32 v53, vcc, 0, v66, vcc
	v_add_co_u32_e32 v50, vcc, 0x1000, v54
	v_addc_co_u32_e32 v51, vcc, 0, v66, vcc
	global_load_dwordx2 v[50:51], v[50:51], off offset:1504
	ds_read_b64 v[48:49], v58
	v_add_u32_e32 v67, 0x400, v58
	s_movk_i32 s8, 0x2000
	s_waitcnt vmcnt(0) lgkmcnt(0)
	v_mul_f32_e32 v62, v49, v51
	v_mul_f32_e32 v63, v48, v51
	v_fma_f32 v62, v48, v50, -v62
	v_fmac_f32_e32 v63, v49, v50
	ds_write_b64 v58, v[62:63]
	global_load_dwordx2 v[62:63], v[52:53], off offset:560
	ds_read2_b64 v[48:51], v58 offset0:70 offset1:140
	s_waitcnt vmcnt(0) lgkmcnt(0)
	v_mul_f32_e32 v64, v49, v63
	v_mul_f32_e32 v65, v48, v63
	v_fma_f32 v64, v48, v62, -v64
	v_fmac_f32_e32 v65, v49, v62
	global_load_dwordx2 v[48:49], v[52:53], off offset:1120
	s_waitcnt vmcnt(0)
	v_mul_f32_e32 v62, v51, v49
	v_mul_f32_e32 v63, v50, v49
	v_fma_f32 v62, v50, v48, -v62
	v_fmac_f32_e32 v63, v51, v48
	ds_write2_b64 v58, v[64:65], v[62:63] offset0:70 offset1:140
	global_load_dwordx2 v[62:63], v[52:53], off offset:1680
	ds_read2_b64 v[48:51], v67 offset0:82 offset1:152
	s_waitcnt vmcnt(0) lgkmcnt(0)
	v_mul_f32_e32 v64, v49, v63
	v_mul_f32_e32 v65, v48, v63
	v_fma_f32 v64, v48, v62, -v64
	v_fmac_f32_e32 v65, v49, v62
	global_load_dwordx2 v[48:49], v[52:53], off offset:2240
	s_waitcnt vmcnt(0)
	v_mul_f32_e32 v62, v51, v49
	v_mul_f32_e32 v63, v50, v49
	v_fma_f32 v62, v50, v48, -v62
	v_fmac_f32_e32 v63, v51, v48
	ds_write2_b64 v67, v[64:65], v[62:63] offset0:82 offset1:152
	global_load_dwordx2 v[62:63], v[52:53], off offset:2800
	v_add_u32_e32 v67, 0x800, v58
	ds_read2_b64 v[48:51], v67 offset0:94 offset1:164
	s_waitcnt vmcnt(0) lgkmcnt(0)
	v_mul_f32_e32 v64, v49, v63
	v_mul_f32_e32 v65, v48, v63
	v_fma_f32 v64, v48, v62, -v64
	v_fmac_f32_e32 v65, v49, v62
	global_load_dwordx2 v[48:49], v[52:53], off offset:3360
	s_waitcnt vmcnt(0)
	v_mul_f32_e32 v62, v51, v49
	global_load_dwordx2 v[52:53], v[52:53], off offset:3920
	v_mul_f32_e32 v63, v50, v49
	v_fma_f32 v62, v50, v48, -v62
	v_fmac_f32_e32 v63, v51, v48
	ds_write2_b64 v67, v[64:65], v[62:63] offset0:94 offset1:164
	v_add_u32_e32 v67, 0xc00, v58
	ds_read2_b64 v[48:51], v67 offset0:106 offset1:176
	s_waitcnt vmcnt(0) lgkmcnt(0)
	v_mul_f32_e32 v62, v49, v53
	v_fma_f32 v62, v48, v52, -v62
	v_mul_f32_e32 v63, v48, v53
	v_add_co_u32_e32 v48, vcc, s8, v54
	v_fmac_f32_e32 v63, v49, v52
	v_addc_co_u32_e32 v49, vcc, 0, v66, vcc
	global_load_dwordx2 v[52:53], v[48:49], off offset:1888
	s_waitcnt vmcnt(0)
	v_mul_f32_e32 v54, v51, v53
	global_load_dwordx2 v[48:49], v[48:49], off offset:2448
	v_mul_f32_e32 v65, v50, v53
	v_fma_f32 v64, v50, v52, -v54
	v_fmac_f32_e32 v65, v51, v52
	ds_read_b64 v[50:51], v58 offset:5040
	ds_write2_b64 v67, v[62:63], v[64:65] offset0:106 offset1:176
	s_waitcnt vmcnt(0) lgkmcnt(1)
	v_mul_f32_e32 v52, v51, v49
	v_mul_f32_e32 v53, v50, v49
	v_fma_f32 v52, v50, v48, -v52
	v_fmac_f32_e32 v53, v51, v48
	ds_write_b64 v58, v[52:53] offset:5040
.LBB0_13:
	s_or_b64 exec, exec, s[2:3]
	s_waitcnt lgkmcnt(0)
	s_barrier
	s_and_saveexec_b64 s[2:3], s[0:1]
	s_cbranch_execz .LBB0_15
; %bb.14:
	v_add_u32_e32 v40, 0x800, v58
	v_add_u32_e32 v44, 0x1000, v58
	ds_read2_b64 v[28:31], v58 offset1:70
	ds_read2_b64 v[32:35], v58 offset0:140 offset1:210
	ds_read2_b64 v[36:39], v40 offset0:24 offset1:94
	;; [unrolled: 1-line block ×4, first 2 shown]
.LBB0_15:
	s_or_b64 exec, exec, s[2:3]
	s_waitcnt lgkmcnt(2)
	v_sub_f32_e32 v49, v32, v36
	s_waitcnt lgkmcnt(0)
	v_sub_f32_e32 v50, v44, v40
	v_add_f32_e32 v70, v50, v49
	v_add_f32_e32 v49, v44, v32
	v_fma_f32 v64, -0.5, v49, v28
	v_add_f32_e32 v48, v40, v36
	v_sub_f32_e32 v69, v37, v41
	v_mov_b32_e32 v63, v64
	v_fma_f32 v65, -0.5, v48, v28
	v_sub_f32_e32 v48, v33, v45
	v_fmac_f32_e32 v63, 0x3f737871, v69
	v_sub_f32_e32 v49, v36, v32
	v_sub_f32_e32 v50, v40, v44
	v_fmac_f32_e32 v64, 0xbf737871, v69
	v_fmac_f32_e32 v63, 0xbf167918, v48
	v_add_f32_e32 v49, v50, v49
	v_fmac_f32_e32 v64, 0x3f167918, v48
	v_fmac_f32_e32 v63, 0x3e9e377a, v49
	;; [unrolled: 1-line block ×3, first 2 shown]
	v_add_f32_e32 v49, v41, v37
	v_fma_f32 v71, -0.5, v49, v29
	v_sub_f32_e32 v49, v33, v37
	v_sub_f32_e32 v50, v45, v41
	v_add_f32_e32 v74, v50, v49
	v_add_f32_e32 v49, v45, v33
	v_fma_f32 v68, -0.5, v49, v29
	v_sub_f32_e32 v73, v36, v40
	v_mov_b32_e32 v67, v68
	v_sub_f32_e32 v72, v32, v44
	v_fmac_f32_e32 v67, 0xbf737871, v73
	v_sub_f32_e32 v49, v37, v33
	v_sub_f32_e32 v50, v41, v45
	v_fmac_f32_e32 v68, 0x3f737871, v73
	v_fmac_f32_e32 v67, 0x3f167918, v72
	v_add_f32_e32 v49, v50, v49
	v_fmac_f32_e32 v68, 0xbf167918, v72
	v_fmac_f32_e32 v67, 0x3e9e377a, v49
	;; [unrolled: 1-line block ×3, first 2 shown]
	v_add_f32_e32 v49, v38, v42
	v_fma_f32 v75, -0.5, v49, v30
	v_sub_f32_e32 v49, v34, v38
	v_sub_f32_e32 v50, v46, v42
	v_add_f32_e32 v78, v49, v50
	v_add_f32_e32 v50, v34, v46
	v_fma_f32 v50, -0.5, v50, v30
	v_sub_f32_e32 v77, v39, v43
	v_mov_b32_e32 v51, v50
	v_sub_f32_e32 v76, v35, v47
	v_fmac_f32_e32 v51, 0x3f737871, v77
	v_sub_f32_e32 v52, v38, v34
	v_sub_f32_e32 v53, v42, v46
	v_fmac_f32_e32 v50, 0xbf737871, v77
	v_fmac_f32_e32 v51, 0xbf167918, v76
	v_add_f32_e32 v52, v52, v53
	v_fmac_f32_e32 v50, 0x3f167918, v76
	v_fmac_f32_e32 v51, 0x3e9e377a, v52
	v_fmac_f32_e32 v50, 0x3e9e377a, v52
	v_add_f32_e32 v52, v39, v43
	v_fma_f32 v82, -0.5, v52, v31
	v_sub_f32_e32 v52, v35, v39
	v_sub_f32_e32 v53, v47, v43
	v_add_f32_e32 v88, v52, v53
	v_add_f32_e32 v53, v35, v47
	v_fma_f32 v53, -0.5, v53, v31
	v_sub_f32_e32 v85, v34, v46
	v_sub_f32_e32 v86, v38, v42
	v_mov_b32_e32 v52, v82
	v_mov_b32_e32 v54, v53
	;; [unrolled: 1-line block ×3, first 2 shown]
	v_fmac_f32_e32 v52, 0xbf737871, v85
	v_fmac_f32_e32 v54, 0xbf737871, v86
	v_sub_f32_e32 v79, v39, v35
	v_sub_f32_e32 v80, v43, v47
	v_fmac_f32_e32 v53, 0x3f737871, v86
	v_mov_b32_e32 v62, v65
	v_mov_b32_e32 v66, v71
	v_fmac_f32_e32 v49, 0x3f737871, v76
	v_fmac_f32_e32 v52, 0xbf167918, v86
	;; [unrolled: 1-line block ×3, first 2 shown]
	v_add_f32_e32 v79, v79, v80
	v_fmac_f32_e32 v53, 0xbf167918, v85
	v_fmac_f32_e32 v62, 0x3f737871, v48
	;; [unrolled: 1-line block ×10, first 2 shown]
	v_mul_f32_e32 v79, 0xbf737871, v54
	v_mul_f32_e32 v80, 0xbf737871, v53
	;; [unrolled: 1-line block ×6, first 2 shown]
	v_fmac_f32_e32 v62, 0x3e9e377a, v70
	v_fmac_f32_e32 v66, 0x3e9e377a, v74
	;; [unrolled: 1-line block ×8, first 2 shown]
	v_sub_f32_e32 v49, v63, v79
	v_sub_f32_e32 v51, v64, v80
	;; [unrolled: 1-line block ×6, first 2 shown]
	s_barrier
	s_and_saveexec_b64 s[2:3], s[0:1]
	s_cbranch_execz .LBB0_17
; %bb.16:
	v_mul_f32_e32 v89, 0x3f737871, v48
	v_mul_f32_e32 v48, 0x3f737871, v72
	v_add_f32_e32 v29, v33, v29
	v_mul_f32_e32 v72, 0x3f167918, v73
	v_add_f32_e32 v48, v48, v71
	v_add_f32_e32 v29, v37, v29
	v_mul_f32_e32 v73, 0x3e9e377a, v74
	v_mul_f32_e32 v74, 0x3f737871, v76
	v_add_f32_e32 v48, v72, v48
	v_add_f32_e32 v29, v41, v29
	v_mul_f32_e32 v76, 0x3f167918, v77
	v_add_f32_e32 v71, v73, v48
	v_sub_f32_e32 v48, v75, v74
	v_add_f32_e32 v37, v45, v29
	v_add_f32_e32 v29, v35, v31
	;; [unrolled: 1-line block ×3, first 2 shown]
	v_mul_f32_e32 v77, 0x3e9e377a, v78
	v_mul_f32_e32 v78, 0x3f737871, v85
	v_sub_f32_e32 v48, v48, v76
	v_add_f32_e32 v29, v39, v29
	v_add_f32_e32 v28, v36, v28
	v_mul_f32_e32 v85, 0x3f167918, v86
	v_add_f32_e32 v72, v77, v48
	v_add_f32_e32 v48, v78, v82
	;; [unrolled: 1-line block ×4, first 2 shown]
	v_mul_f32_e32 v69, 0x3f167918, v69
	v_mul_f32_e32 v86, 0x3e9e377a, v88
	v_add_f32_e32 v48, v85, v48
	v_add_f32_e32 v41, v47, v29
	v_sub_f32_e32 v29, v65, v89
	v_add_f32_e32 v36, v44, v28
	v_add_f32_e32 v28, v34, v30
	v_mul_f32_e32 v70, 0x3e9e377a, v70
	v_add_f32_e32 v73, v86, v48
	v_sub_f32_e32 v29, v29, v69
	v_add_f32_e32 v28, v38, v28
	s_mov_b32 s8, 0x3f4f1bbd
	v_mul_f32_e32 v74, 0x3f4f1bbd, v73
	v_add_f32_e32 v43, v70, v29
	v_mul_f32_e32 v29, 0x3f167918, v73
	v_add_f32_e32 v28, v42, v28
	v_fmac_f32_e32 v74, 0x3f167918, v72
	v_fma_f32 v45, v72, s8, -v29
	v_add_f32_e32 v40, v46, v28
	v_sub_f32_e32 v31, v37, v41
	v_sub_f32_e32 v30, v36, v40
	v_add_f32_e32 v39, v71, v74
	v_add_f32_e32 v37, v41, v37
	;; [unrolled: 1-line block ×4, first 2 shown]
	v_lshlrev_b32_e32 v40, 3, v60
	v_sub_f32_e32 v48, v71, v74
	v_sub_f32_e32 v47, v43, v45
	v_add_f32_e32 v29, v66, v87
	v_add_f32_e32 v35, v68, v84
	;; [unrolled: 1-line block ×6, first 2 shown]
	ds_write_b128 v40, v[36:39]
	ds_write_b128 v40, v[32:35] offset:16
	ds_write_b128 v40, v[28:31] offset:32
	;; [unrolled: 1-line block ×4, first 2 shown]
.LBB0_17:
	s_or_b64 exec, exec, s[2:3]
	s_waitcnt lgkmcnt(0)
	s_barrier
	ds_read2_b64 v[29:32], v58 offset1:100
	v_add_u32_e32 v28, 0x400, v58
	ds_read2_b64 v[33:36], v28 offset0:72 offset1:172
	v_add_u32_e32 v28, 0x800, v58
	ds_read2_b64 v[37:40], v28 offset0:144 offset1:244
	ds_read_b64 v[41:42], v58 offset:4800
	s_waitcnt lgkmcnt(3)
	v_mul_f32_e32 v43, v9, v32
	v_mul_f32_e32 v9, v9, v31
	v_fmac_f32_e32 v43, v8, v31
	v_fma_f32 v8, v8, v32, -v9
	s_waitcnt lgkmcnt(2)
	v_mul_f32_e32 v9, v11, v34
	v_mul_f32_e32 v11, v11, v33
	v_fmac_f32_e32 v9, v10, v33
	v_fma_f32 v10, v10, v34, -v11
	v_mul_f32_e32 v11, v5, v36
	v_mul_f32_e32 v5, v5, v35
	v_fmac_f32_e32 v11, v4, v35
	v_fma_f32 v4, v4, v36, -v5
	s_waitcnt lgkmcnt(1)
	v_mul_f32_e32 v5, v7, v38
	v_mul_f32_e32 v7, v7, v37
	v_fmac_f32_e32 v5, v6, v37
	v_fma_f32 v6, v6, v38, -v7
	;; [unrolled: 9-line block ×3, first 2 shown]
	v_add_f32_e32 v3, v43, v1
	v_add_f32_e32 v31, v8, v2
	v_sub_f32_e32 v2, v8, v2
	v_add_f32_e32 v8, v9, v7
	v_add_f32_e32 v32, v10, v0
	v_sub_f32_e32 v7, v9, v7
	v_sub_f32_e32 v0, v10, v0
	v_add_f32_e32 v9, v11, v5
	v_add_f32_e32 v10, v4, v6
	v_sub_f32_e32 v4, v6, v4
	v_add_f32_e32 v6, v8, v3
	v_sub_f32_e32 v5, v5, v11
	v_add_f32_e32 v11, v32, v31
	v_add_f32_e32 v6, v9, v6
	v_sub_f32_e32 v1, v43, v1
	v_sub_f32_e32 v33, v8, v3
	;; [unrolled: 1-line block ×4, first 2 shown]
	v_add_f32_e32 v35, v5, v7
	v_add_f32_e32 v36, v4, v0
	v_sub_f32_e32 v38, v4, v0
	v_sub_f32_e32 v39, v0, v2
	v_add_f32_e32 v9, v10, v11
	v_add_f32_e32 v0, v29, v6
	v_sub_f32_e32 v34, v32, v31
	v_sub_f32_e32 v31, v31, v10
	;; [unrolled: 1-line block ×6, first 2 shown]
	v_add_f32_e32 v10, v35, v1
	v_add_f32_e32 v1, v30, v9
	v_mul_f32_e32 v35, 0x3f08b237, v38
	v_mov_b32_e32 v38, v0
	v_mul_f32_e32 v29, 0x3d64c772, v8
	v_mul_f32_e32 v30, 0x3d64c772, v32
	v_fmac_f32_e32 v38, 0xbf955555, v6
	v_mov_b32_e32 v6, v1
	s_mov_b32 s3, 0x3f3bfb3b
	v_mul_f32_e32 v3, 0x3f4a47b2, v3
	v_mul_f32_e32 v11, 0x3f4a47b2, v31
	;; [unrolled: 1-line block ×3, first 2 shown]
	s_mov_b32 s2, 0xbf5ff5aa
	v_fmac_f32_e32 v6, 0xbf955555, v9
	v_fma_f32 v9, v33, s3, -v29
	v_fma_f32 v29, v34, s3, -v30
	s_mov_b32 s3, 0xbf3bfb3b
	v_sub_f32_e32 v4, v2, v4
	v_add_f32_e32 v2, v36, v2
	v_mul_f32_e32 v36, 0xbf5ff5aa, v7
	v_mul_f32_e32 v37, 0xbf5ff5aa, v39
	v_fma_f32 v30, v33, s3, -v3
	v_fmac_f32_e32 v3, 0x3d64c772, v8
	v_fma_f32 v8, v34, s3, -v11
	v_fmac_f32_e32 v11, 0x3d64c772, v32
	v_fma_f32 v32, v7, s2, -v31
	v_fma_f32 v33, v39, s2, -v35
	s_mov_b32 s2, 0x3eae86e6
	v_fmac_f32_e32 v31, 0xbeae86e6, v5
	v_fmac_f32_e32 v35, 0xbeae86e6, v4
	v_fma_f32 v34, v5, s2, -v36
	v_fma_f32 v36, v4, s2, -v37
	v_add_f32_e32 v37, v3, v38
	v_add_f32_e32 v39, v11, v6
	v_add_f32_e32 v9, v9, v38
	v_add_f32_e32 v11, v29, v6
	v_add_f32_e32 v29, v30, v38
	v_add_f32_e32 v30, v8, v6
	v_fmac_f32_e32 v31, 0xbee1c552, v10
	v_fmac_f32_e32 v35, 0xbee1c552, v2
	;; [unrolled: 1-line block ×6, first 2 shown]
	v_add_f32_e32 v2, v35, v37
	v_sub_f32_e32 v3, v39, v31
	v_add_f32_e32 v4, v36, v29
	v_sub_f32_e32 v5, v30, v34
	v_sub_f32_e32 v6, v9, v33
	v_add_f32_e32 v7, v32, v11
	v_add_f32_e32 v8, v33, v9
	v_sub_f32_e32 v9, v11, v32
	v_sub_f32_e32 v10, v29, v36
	v_add_f32_e32 v11, v34, v30
	v_sub_f32_e32 v47, v37, v35
	v_add_f32_e32 v48, v31, v39
	s_barrier
	ds_write2_b64 v61, v[0:1], v[2:3] offset1:10
	ds_write2_b64 v61, v[4:5], v[6:7] offset0:20 offset1:30
	ds_write2_b64 v61, v[8:9], v[10:11] offset0:40 offset1:50
	ds_write_b64 v61, v[47:48] offset:480
	s_waitcnt lgkmcnt(0)
	s_barrier
	s_and_saveexec_b64 s[2:3], s[0:1]
	s_cbranch_execz .LBB0_19
; %bb.18:
	ds_read2_b64 v[0:3], v58 offset1:70
	ds_read2_b64 v[4:7], v58 offset0:140 offset1:210
	ds_read2_b64 v[8:11], v28 offset0:24 offset1:94
	;; [unrolled: 1-line block ×3, first 2 shown]
	v_add_u32_e32 v28, 0x1000, v58
	ds_read2_b64 v[51:54], v28 offset0:48 offset1:118
.LBB0_19:
	s_or_b64 exec, exec, s[2:3]
	s_and_saveexec_b64 s[2:3], s[0:1]
	s_cbranch_execz .LBB0_21
; %bb.20:
	s_waitcnt lgkmcnt(3)
	v_mul_f32_e32 v28, v15, v4
	s_waitcnt lgkmcnt(2)
	v_mul_f32_e32 v29, v27, v8
	v_mul_f32_e32 v15, v15, v5
	v_fma_f32 v28, v14, v5, -v28
	v_fma_f32 v29, v26, v9, -v29
	s_waitcnt lgkmcnt(0)
	v_mul_f32_e32 v31, v19, v51
	v_mul_f32_e32 v32, v23, v47
	v_fmac_f32_e32 v15, v14, v4
	v_mul_f32_e32 v14, v19, v52
	v_mul_f32_e32 v9, v27, v9
	;; [unrolled: 1-line block ×3, first 2 shown]
	v_fma_f32 v32, v22, v48, -v32
	v_fmac_f32_e32 v9, v26, v8
	v_fmac_f32_e32 v19, v22, v47
	v_mul_f32_e32 v22, v25, v7
	v_mul_f32_e32 v23, v21, v11
	;; [unrolled: 1-line block ×4, first 2 shown]
	v_fmac_f32_e32 v22, v24, v6
	v_fmac_f32_e32 v23, v20, v10
	v_fmac_f32_e32 v26, v56, v53
	v_fmac_f32_e32 v27, v16, v49
	v_sub_f32_e32 v4, v22, v23
	v_sub_f32_e32 v34, v26, v27
	v_mul_f32_e32 v35, v13, v3
	v_add_f32_e32 v34, v4, v34
	v_fmac_f32_e32 v35, v12, v2
	v_add_f32_e32 v4, v23, v27
	v_fma_f32 v36, -0.5, v4, v35
	v_mul_f32_e32 v4, v25, v6
	v_fma_f32 v7, v24, v7, -v4
	v_mul_f32_e32 v4, v57, v53
	v_fma_f32 v24, v56, v54, -v4
	;; [unrolled: 2-line block ×4, first 2 shown]
	v_fma_f32 v31, v18, v52, -v31
	v_sub_f32_e32 v4, v7, v10
	v_sub_f32_e32 v6, v24, v11
	v_mul_f32_e32 v2, v13, v2
	v_sub_f32_e32 v30, v28, v29
	v_sub_f32_e32 v33, v31, v32
	v_add_f32_e32 v17, v4, v6
	v_fma_f32 v3, v12, v3, -v2
	v_add_f32_e32 v2, v10, v11
	v_sub_f32_e32 v4, v29, v28
	v_sub_f32_e32 v6, v32, v31
	v_add_f32_e32 v30, v33, v30
	v_add_f32_e32 v33, v32, v29
	v_fma_f32 v12, -0.5, v2, v3
	v_add_f32_e32 v6, v6, v4
	v_add_f32_e32 v4, v31, v28
	v_fma_f32 v33, -0.5, v33, v1
	v_sub_f32_e32 v13, v22, v26
	v_mov_b32_e32 v20, v12
	v_fma_f32 v39, -0.5, v4, v1
	v_add_f32_e32 v1, v28, v1
	v_fmac_f32_e32 v20, 0xbf737871, v13
	v_sub_f32_e32 v21, v23, v27
	v_fmac_f32_e32 v12, 0x3f737871, v13
	v_add_f32_e32 v1, v29, v1
	v_fmac_f32_e32 v20, 0xbf167918, v21
	v_sub_f32_e32 v4, v23, v22
	v_sub_f32_e32 v41, v27, v26
	v_fmac_f32_e32 v12, 0x3f167918, v21
	v_add_f32_e32 v1, v32, v1
	v_fmac_f32_e32 v20, 0x3e9e377a, v17
	v_add_f32_e32 v41, v4, v41
	v_add_f32_e32 v4, v22, v26
	v_fmac_f32_e32 v12, 0x3e9e377a, v17
	v_add_f32_e32 v17, v31, v1
	v_add_f32_e32 v1, v7, v3
	v_fma_f32 v42, -0.5, v4, v35
	v_sub_f32_e32 v4, v10, v7
	v_sub_f32_e32 v44, v11, v24
	v_add_f32_e32 v1, v10, v1
	v_fmac_f32_e32 v14, v18, v51
	v_sub_f32_e32 v8, v9, v19
	v_mov_b32_e32 v40, v39
	v_add_f32_e32 v44, v4, v44
	v_add_f32_e32 v4, v7, v24
	;; [unrolled: 1-line block ×3, first 2 shown]
	v_sub_f32_e32 v5, v15, v14
	v_mov_b32_e32 v18, v33
	v_sub_f32_e32 v16, v10, v11
	v_fmac_f32_e32 v40, 0x3f737871, v8
	v_fma_f32 v45, -0.5, v4, v3
	v_fmac_f32_e32 v39, 0xbf737871, v8
	v_add_f32_e32 v11, v24, v1
	v_sub_f32_e32 v1, v15, v9
	v_sub_f32_e32 v3, v14, v19
	v_fmac_f32_e32 v18, 0xbf737871, v5
	v_sub_f32_e32 v25, v7, v24
	v_fmac_f32_e32 v40, 0xbf167918, v5
	v_mov_b32_e32 v43, v42
	v_fmac_f32_e32 v39, 0x3f167918, v5
	v_fmac_f32_e32 v33, 0x3f737871, v5
	v_add_f32_e32 v7, v3, v1
	v_sub_f32_e32 v3, v9, v15
	v_sub_f32_e32 v5, v19, v14
	v_mov_b32_e32 v37, v36
	v_fmac_f32_e32 v43, 0xbf737871, v16
	v_mov_b32_e32 v46, v45
	v_fmac_f32_e32 v42, 0x3f737871, v16
	v_add_f32_e32 v1, v19, v9
	v_add_f32_e32 v5, v5, v3
	;; [unrolled: 1-line block ×3, first 2 shown]
	v_fmac_f32_e32 v37, 0x3f737871, v25
	v_fmac_f32_e32 v43, 0x3f167918, v25
	;; [unrolled: 1-line block ×6, first 2 shown]
	v_fma_f32 v21, -0.5, v1, v0
	v_sub_f32_e32 v25, v29, v32
	v_fma_f32 v29, -0.5, v3, v0
	v_add_f32_e32 v0, v15, v0
	v_fmac_f32_e32 v18, 0xbf167918, v8
	v_fmac_f32_e32 v37, 0x3f167918, v16
	v_fmac_f32_e32 v33, 0x3f167918, v8
	v_fmac_f32_e32 v36, 0xbf167918, v16
	v_sub_f32_e32 v16, v28, v31
	v_mov_b32_e32 v24, v21
	v_add_f32_e32 v0, v9, v0
	v_add_f32_e32 v9, v22, v35
	v_fmac_f32_e32 v18, 0x3e9e377a, v30
	v_fmac_f32_e32 v46, 0xbf167918, v13
	;; [unrolled: 1-line block ×5, first 2 shown]
	v_mov_b32_e32 v30, v29
	v_fmac_f32_e32 v21, 0xbf737871, v16
	v_add_f32_e32 v9, v23, v9
	v_fmac_f32_e32 v37, 0x3e9e377a, v34
	v_mul_f32_e32 v38, 0xbf4f1bbd, v20
	v_fmac_f32_e32 v46, 0x3e9e377a, v44
	v_fmac_f32_e32 v45, 0x3e9e377a, v44
	;; [unrolled: 1-line block ×3, first 2 shown]
	v_mul_f32_e32 v13, 0x3f4f1bbd, v12
	v_fmac_f32_e32 v24, 0x3f167918, v25
	v_mul_f32_e32 v28, 0xbf167918, v20
	v_fmac_f32_e32 v30, 0xbf737871, v25
	v_fmac_f32_e32 v29, 0x3f737871, v25
	;; [unrolled: 1-line block ×3, first 2 shown]
	v_mul_f32_e32 v25, 0xbf167918, v12
	v_add_f32_e32 v0, v19, v0
	v_add_f32_e32 v9, v27, v9
	v_fmac_f32_e32 v38, 0x3f167918, v37
	v_fmac_f32_e32 v43, 0x3e9e377a, v41
	v_mul_f32_e32 v47, 0xbe9e377a, v46
	v_fmac_f32_e32 v42, 0x3e9e377a, v41
	v_mul_f32_e32 v41, 0x3e9e377a, v45
	v_fmac_f32_e32 v13, 0x3f167918, v36
	v_fmac_f32_e32 v24, 0x3e9e377a, v7
	;; [unrolled: 1-line block ×4, first 2 shown]
	v_mul_f32_e32 v31, 0xbf737871, v46
	v_fmac_f32_e32 v29, 0xbf167918, v16
	v_mul_f32_e32 v32, 0xbf737871, v45
	v_fmac_f32_e32 v21, 0x3e9e377a, v7
	v_fmac_f32_e32 v25, 0x3f4f1bbd, v36
	v_add_f32_e32 v0, v14, v0
	v_add_f32_e32 v19, v26, v9
	v_sub_f32_e32 v2, v18, v38
	v_fmac_f32_e32 v40, 0x3e9e377a, v6
	v_fmac_f32_e32 v47, 0x3f737871, v43
	;; [unrolled: 1-line block ×4, first 2 shown]
	v_sub_f32_e32 v10, v17, v11
	v_fmac_f32_e32 v30, 0x3e9e377a, v5
	v_fmac_f32_e32 v31, 0xbe9e377a, v43
	;; [unrolled: 1-line block ×4, first 2 shown]
	v_sub_f32_e32 v9, v0, v19
	v_add_f32_e32 v12, v18, v38
	v_add_f32_e32 v18, v33, v13
	;; [unrolled: 1-line block ×6, first 2 shown]
	v_add_u32_e32 v0, 0x800, v58
	v_sub_f32_e32 v4, v40, v47
	v_sub_f32_e32 v6, v39, v41
	;; [unrolled: 1-line block ×7, first 2 shown]
	v_add_f32_e32 v14, v40, v47
	v_add_f32_e32 v16, v39, v41
	;; [unrolled: 1-line block ×4, first 2 shown]
	ds_write2_b64 v58, v[19:20], v[17:18] offset1:70
	ds_write2_b64 v58, v[15:16], v[13:14] offset0:140 offset1:210
	ds_write2_b64 v0, v[11:12], v[9:10] offset0:24 offset1:94
	;; [unrolled: 1-line block ×3, first 2 shown]
	v_add_u32_e32 v0, 0x1000, v58
	ds_write2_b64 v0, v[3:4], v[1:2] offset0:48 offset1:118
.LBB0_21:
	s_or_b64 exec, exec, s[2:3]
	s_waitcnt lgkmcnt(0)
	s_barrier
	s_and_b64 exec, exec, s[0:1]
	s_cbranch_execz .LBB0_23
; %bb.22:
	global_load_dwordx2 v[8:9], v58, s[14:15]
	global_load_dwordx2 v[10:11], v58, s[14:15] offset:560
	global_load_dwordx2 v[12:13], v58, s[14:15] offset:1120
	;; [unrolled: 1-line block ×3, first 2 shown]
	ds_read_b64 v[18:19], v58
	ds_read2_b64 v[0:3], v58 offset0:70 offset1:140
	global_load_dwordx2 v[22:23], v58, s[14:15] offset:2240
	global_load_dwordx2 v[24:25], v58, s[14:15] offset:2800
	;; [unrolled: 1-line block ×4, first 2 shown]
	v_mad_u64_u32 v[16:17], s[0:1], s6, v55, 0
	v_mad_u64_u32 v[20:21], s[2:3], s4, v59, 0
	s_mul_i32 s3, s5, 0x230
	s_mul_hi_u32 s6, s4, 0x230
	s_add_i32 s3, s6, s3
	s_waitcnt lgkmcnt(1)
	v_mad_u64_u32 v[32:33], s[6:7], s7, v55, v[17:18]
	s_mul_i32 s2, s4, 0x230
	v_mov_b32_e32 v4, s15
	v_add_co_u32_e32 v35, vcc, s14, v58
	s_movk_i32 s8, 0x1000
	v_addc_co_u32_e32 v36, vcc, 0, v4, vcc
	v_mov_b32_e32 v17, v32
	v_lshlrev_b64 v[16:17], 3, v[16:17]
	v_add_u32_e32 v5, 0x400, v58
	v_mov_b32_e32 v38, s13
	ds_read2_b64 v[4:7], v5 offset0:82 offset1:152
	v_mov_b32_e32 v39, s3
	s_mov_b32 s0, 0xe434a9b1
	s_mov_b32 s1, 0x3f5767dc
	ds_read_b64 v[30:31], v58 offset:5040
	v_mov_b32_e32 v40, s3
	s_waitcnt vmcnt(7)
	v_mul_f32_e32 v32, v19, v9
	v_mul_f32_e32 v9, v18, v9
	v_fmac_f32_e32 v32, v18, v8
	s_waitcnt vmcnt(3)
	v_mad_u64_u32 v[33:34], s[4:5], s5, v59, v[21:22]
	v_add_co_u32_e32 v34, vcc, s8, v35
	v_addc_co_u32_e32 v35, vcc, 0, v36, vcc
	v_mov_b32_e32 v21, v33
	v_lshlrev_b64 v[20:21], 3, v[20:21]
	v_add_co_u32_e32 v16, vcc, s12, v16
	v_addc_co_u32_e32 v17, vcc, v38, v17, vcc
	v_add_co_u32_e32 v16, vcc, v16, v20
	v_addc_co_u32_e32 v17, vcc, v17, v21, vcc
	v_add_co_u32_e32 v20, vcc, s2, v16
	s_waitcnt lgkmcnt(2)
	v_mul_f32_e32 v33, v1, v11
	v_mul_f32_e32 v11, v0, v11
	;; [unrolled: 1-line block ×4, first 2 shown]
	v_fma_f32 v8, v8, v19, -v9
	v_addc_co_u32_e32 v21, vcc, v17, v39, vcc
	s_waitcnt lgkmcnt(1)
	v_mul_f32_e32 v39, v5, v15
	v_mul_f32_e32 v15, v4, v15
	v_fmac_f32_e32 v33, v0, v10
	v_fma_f32 v9, v10, v1, -v11
	v_fmac_f32_e32 v38, v2, v12
	v_fma_f32 v12, v12, v3, -v13
	v_cvt_f64_f32_e32 v[0:1], v32
	v_cvt_f64_f32_e32 v[2:3], v8
	v_fmac_f32_e32 v39, v4, v14
	v_fma_f32 v18, v14, v5, -v15
	v_cvt_f64_f32_e32 v[4:5], v33
	v_cvt_f64_f32_e32 v[8:9], v9
	v_mul_f64 v[0:1], v[0:1], s[0:1]
	v_mul_f64 v[2:3], v[2:3], s[0:1]
	v_cvt_f64_f32_e32 v[10:11], v38
	v_mul_f64 v[4:5], v[4:5], s[0:1]
	v_mul_f64 v[8:9], v[8:9], s[0:1]
	global_load_dwordx2 v[36:37], v[34:35], off offset:384
	v_mul_f64 v[10:11], v[10:11], s[0:1]
	v_cvt_f64_f32_e32 v[12:13], v12
	v_cvt_f32_f64_e32 v0, v[0:1]
	v_cvt_f32_f64_e32 v1, v[2:3]
	v_cvt_f64_f32_e32 v[14:15], v39
	v_cvt_f32_f64_e32 v2, v[4:5]
	v_cvt_f32_f64_e32 v3, v[8:9]
	global_store_dwordx2 v[16:17], v[0:1], off
	global_store_dwordx2 v[20:21], v[2:3], off
	v_cvt_f32_f64_e32 v4, v[10:11]
	global_load_dwordx2 v[10:11], v[34:35], off offset:944
	v_cvt_f64_f32_e32 v[18:19], v18
	v_mul_f64 v[12:13], v[12:13], s[0:1]
	v_mul_f64 v[14:15], v[14:15], s[0:1]
	v_mul_f32_e32 v0, v7, v23
	v_mul_f64 v[18:19], v[18:19], s[0:1]
	v_fmac_f32_e32 v0, v6, v22
	v_add_co_u32_e32 v8, vcc, s2, v20
	v_addc_co_u32_e32 v9, vcc, v21, v40, vcc
	v_cvt_f32_f64_e32 v5, v[12:13]
	v_cvt_f64_f32_e32 v[12:13], v0
	v_mul_f32_e32 v0, v6, v23
	v_fma_f32 v0, v22, v7, -v0
	v_cvt_f64_f32_e32 v[6:7], v0
	v_add_u32_e32 v0, 0x800, v58
	ds_read2_b64 v[0:3], v0 offset0:94 offset1:164
	global_store_dwordx2 v[8:9], v[4:5], off
	v_cvt_f32_f64_e32 v4, v[14:15]
	v_cvt_f32_f64_e32 v5, v[18:19]
	v_mov_b32_e32 v14, s3
	v_add_co_u32_e32 v8, vcc, s2, v8
	v_addc_co_u32_e32 v9, vcc, v9, v14, vcc
	global_store_dwordx2 v[8:9], v[4:5], off
	v_mul_f64 v[4:5], v[12:13], s[0:1]
	s_waitcnt vmcnt(8) lgkmcnt(0)
	v_mul_f32_e32 v12, v1, v25
	v_mul_f64 v[6:7], v[6:7], s[0:1]
	v_fmac_f32_e32 v12, v0, v24
	v_mul_f32_e32 v0, v0, v25
	v_fma_f32 v0, v24, v1, -v0
	v_cvt_f64_f32_e32 v[0:1], v0
	v_cvt_f64_f32_e32 v[12:13], v12
	v_cvt_f32_f64_e32 v4, v[4:5]
	v_add_co_u32_e32 v8, vcc, s2, v8
	v_mul_f64 v[0:1], v[0:1], s[0:1]
	v_cvt_f32_f64_e32 v5, v[6:7]
	v_mul_f64 v[6:7], v[12:13], s[0:1]
	v_mov_b32_e32 v12, s3
	v_addc_co_u32_e32 v9, vcc, v9, v12, vcc
	global_store_dwordx2 v[8:9], v[4:5], off
	v_add_co_u32_e32 v8, vcc, s2, v8
	v_cvt_f32_f64_e32 v5, v[0:1]
	s_waitcnt vmcnt(8)
	v_mul_f32_e32 v0, v3, v27
	v_fmac_f32_e32 v0, v2, v26
	v_cvt_f32_f64_e32 v4, v[6:7]
	v_cvt_f64_f32_e32 v[6:7], v0
	v_mul_f32_e32 v0, v2, v27
	v_fma_f32 v0, v26, v3, -v0
	v_cvt_f64_f32_e32 v[12:13], v0
	v_add_u32_e32 v0, 0xc00, v58
	ds_read2_b64 v[0:3], v0 offset0:106 offset1:176
	v_addc_co_u32_e32 v9, vcc, v9, v14, vcc
	global_store_dwordx2 v[8:9], v[4:5], off
	v_mul_f64 v[4:5], v[6:7], s[0:1]
	v_mul_f64 v[6:7], v[12:13], s[0:1]
	s_waitcnt vmcnt(8) lgkmcnt(0)
	v_mul_f32_e32 v12, v1, v29
	v_fmac_f32_e32 v12, v0, v28
	v_mul_f32_e32 v0, v0, v29
	v_fma_f32 v0, v28, v1, -v0
	v_cvt_f64_f32_e32 v[0:1], v0
	v_cvt_f64_f32_e32 v[12:13], v12
	v_cvt_f32_f64_e32 v4, v[4:5]
	v_cvt_f32_f64_e32 v5, v[6:7]
	v_mul_f64 v[0:1], v[0:1], s[0:1]
	v_mul_f64 v[6:7], v[12:13], s[0:1]
	v_mov_b32_e32 v12, s3
	v_add_co_u32_e32 v8, vcc, s2, v8
	v_addc_co_u32_e32 v9, vcc, v9, v12, vcc
	global_store_dwordx2 v[8:9], v[4:5], off
	v_cvt_f32_f64_e32 v5, v[0:1]
	s_waitcnt vmcnt(8)
	v_mul_f32_e32 v0, v3, v37
	v_fmac_f32_e32 v0, v2, v36
	v_mul_f32_e32 v2, v2, v37
	v_fma_f32 v2, v36, v3, -v2
	v_cvt_f64_f32_e32 v[0:1], v0
	v_cvt_f64_f32_e32 v[2:3], v2
	v_cvt_f32_f64_e32 v4, v[6:7]
	v_mov_b32_e32 v7, s3
	v_add_co_u32_e32 v6, vcc, s2, v8
	v_mul_f64 v[0:1], v[0:1], s[0:1]
	v_mul_f64 v[2:3], v[2:3], s[0:1]
	v_addc_co_u32_e32 v7, vcc, v9, v7, vcc
	global_store_dwordx2 v[6:7], v[4:5], off
	s_waitcnt vmcnt(6)
	v_mul_f32_e32 v4, v31, v11
	v_mul_f32_e32 v8, v30, v11
	v_fmac_f32_e32 v4, v30, v10
	v_fma_f32 v8, v10, v31, -v8
	v_cvt_f64_f32_e32 v[4:5], v4
	v_cvt_f64_f32_e32 v[8:9], v8
	v_cvt_f32_f64_e32 v0, v[0:1]
	v_cvt_f32_f64_e32 v1, v[2:3]
	v_mul_f64 v[2:3], v[4:5], s[0:1]
	v_mul_f64 v[4:5], v[8:9], s[0:1]
	v_mov_b32_e32 v8, s3
	v_add_co_u32_e32 v6, vcc, s2, v6
	v_addc_co_u32_e32 v7, vcc, v7, v8, vcc
	global_store_dwordx2 v[6:7], v[0:1], off
	v_cvt_f32_f64_e32 v0, v[2:3]
	v_cvt_f32_f64_e32 v1, v[4:5]
	v_mov_b32_e32 v3, s3
	v_add_co_u32_e32 v2, vcc, s2, v6
	v_addc_co_u32_e32 v3, vcc, v7, v3, vcc
	global_store_dwordx2 v[2:3], v[0:1], off
.LBB0_23:
	s_endpgm
	.section	.rodata,"a",@progbits
	.p2align	6, 0x0
	.amdhsa_kernel bluestein_single_back_len700_dim1_sp_op_CI_CI
		.amdhsa_group_segment_fixed_size 5600
		.amdhsa_private_segment_fixed_size 0
		.amdhsa_kernarg_size 104
		.amdhsa_user_sgpr_count 6
		.amdhsa_user_sgpr_private_segment_buffer 1
		.amdhsa_user_sgpr_dispatch_ptr 0
		.amdhsa_user_sgpr_queue_ptr 0
		.amdhsa_user_sgpr_kernarg_segment_ptr 1
		.amdhsa_user_sgpr_dispatch_id 0
		.amdhsa_user_sgpr_flat_scratch_init 0
		.amdhsa_user_sgpr_private_segment_size 0
		.amdhsa_uses_dynamic_stack 0
		.amdhsa_system_sgpr_private_segment_wavefront_offset 0
		.amdhsa_system_sgpr_workgroup_id_x 1
		.amdhsa_system_sgpr_workgroup_id_y 0
		.amdhsa_system_sgpr_workgroup_id_z 0
		.amdhsa_system_sgpr_workgroup_info 0
		.amdhsa_system_vgpr_workitem_id 0
		.amdhsa_next_free_vgpr 90
		.amdhsa_next_free_sgpr 18
		.amdhsa_reserve_vcc 1
		.amdhsa_reserve_flat_scratch 0
		.amdhsa_float_round_mode_32 0
		.amdhsa_float_round_mode_16_64 0
		.amdhsa_float_denorm_mode_32 3
		.amdhsa_float_denorm_mode_16_64 3
		.amdhsa_dx10_clamp 1
		.amdhsa_ieee_mode 1
		.amdhsa_fp16_overflow 0
		.amdhsa_exception_fp_ieee_invalid_op 0
		.amdhsa_exception_fp_denorm_src 0
		.amdhsa_exception_fp_ieee_div_zero 0
		.amdhsa_exception_fp_ieee_overflow 0
		.amdhsa_exception_fp_ieee_underflow 0
		.amdhsa_exception_fp_ieee_inexact 0
		.amdhsa_exception_int_div_zero 0
	.end_amdhsa_kernel
	.text
.Lfunc_end0:
	.size	bluestein_single_back_len700_dim1_sp_op_CI_CI, .Lfunc_end0-bluestein_single_back_len700_dim1_sp_op_CI_CI
                                        ; -- End function
	.section	.AMDGPU.csdata,"",@progbits
; Kernel info:
; codeLenInByte = 8736
; NumSgprs: 22
; NumVgprs: 90
; ScratchSize: 0
; MemoryBound: 0
; FloatMode: 240
; IeeeMode: 1
; LDSByteSize: 5600 bytes/workgroup (compile time only)
; SGPRBlocks: 2
; VGPRBlocks: 22
; NumSGPRsForWavesPerEU: 22
; NumVGPRsForWavesPerEU: 90
; Occupancy: 2
; WaveLimiterHint : 1
; COMPUTE_PGM_RSRC2:SCRATCH_EN: 0
; COMPUTE_PGM_RSRC2:USER_SGPR: 6
; COMPUTE_PGM_RSRC2:TRAP_HANDLER: 0
; COMPUTE_PGM_RSRC2:TGID_X_EN: 1
; COMPUTE_PGM_RSRC2:TGID_Y_EN: 0
; COMPUTE_PGM_RSRC2:TGID_Z_EN: 0
; COMPUTE_PGM_RSRC2:TIDIG_COMP_CNT: 0
	.type	__hip_cuid_35557a542368f0a0,@object ; @__hip_cuid_35557a542368f0a0
	.section	.bss,"aw",@nobits
	.globl	__hip_cuid_35557a542368f0a0
__hip_cuid_35557a542368f0a0:
	.byte	0                               ; 0x0
	.size	__hip_cuid_35557a542368f0a0, 1

	.ident	"AMD clang version 19.0.0git (https://github.com/RadeonOpenCompute/llvm-project roc-6.4.0 25133 c7fe45cf4b819c5991fe208aaa96edf142730f1d)"
	.section	".note.GNU-stack","",@progbits
	.addrsig
	.addrsig_sym __hip_cuid_35557a542368f0a0
	.amdgpu_metadata
---
amdhsa.kernels:
  - .args:
      - .actual_access:  read_only
        .address_space:  global
        .offset:         0
        .size:           8
        .value_kind:     global_buffer
      - .actual_access:  read_only
        .address_space:  global
        .offset:         8
        .size:           8
        .value_kind:     global_buffer
      - .actual_access:  read_only
        .address_space:  global
        .offset:         16
        .size:           8
        .value_kind:     global_buffer
      - .actual_access:  read_only
        .address_space:  global
        .offset:         24
        .size:           8
        .value_kind:     global_buffer
      - .actual_access:  read_only
        .address_space:  global
        .offset:         32
        .size:           8
        .value_kind:     global_buffer
      - .offset:         40
        .size:           8
        .value_kind:     by_value
      - .address_space:  global
        .offset:         48
        .size:           8
        .value_kind:     global_buffer
      - .address_space:  global
        .offset:         56
        .size:           8
        .value_kind:     global_buffer
      - .address_space:  global
        .offset:         64
        .size:           8
        .value_kind:     global_buffer
      - .address_space:  global
        .offset:         72
        .size:           8
        .value_kind:     global_buffer
      - .offset:         80
        .size:           4
        .value_kind:     by_value
      - .address_space:  global
        .offset:         88
        .size:           8
        .value_kind:     global_buffer
      - .address_space:  global
        .offset:         96
        .size:           8
        .value_kind:     global_buffer
    .group_segment_fixed_size: 5600
    .kernarg_segment_align: 8
    .kernarg_segment_size: 104
    .language:       OpenCL C
    .language_version:
      - 2
      - 0
    .max_flat_workgroup_size: 100
    .name:           bluestein_single_back_len700_dim1_sp_op_CI_CI
    .private_segment_fixed_size: 0
    .sgpr_count:     22
    .sgpr_spill_count: 0
    .symbol:         bluestein_single_back_len700_dim1_sp_op_CI_CI.kd
    .uniform_work_group_size: 1
    .uses_dynamic_stack: false
    .vgpr_count:     90
    .vgpr_spill_count: 0
    .wavefront_size: 64
amdhsa.target:   amdgcn-amd-amdhsa--gfx906
amdhsa.version:
  - 1
  - 2
...

	.end_amdgpu_metadata
